;; amdgpu-corpus repo=ROCm/rocFFT kind=compiled arch=gfx906 opt=O3
	.text
	.amdgcn_target "amdgcn-amd-amdhsa--gfx906"
	.amdhsa_code_object_version 6
	.protected	fft_rtc_back_len900_factors_10_10_3_3_wgs_180_tpt_90_halfLds_dp_ip_CI_unitstride_sbrr_R2C_dirReg ; -- Begin function fft_rtc_back_len900_factors_10_10_3_3_wgs_180_tpt_90_halfLds_dp_ip_CI_unitstride_sbrr_R2C_dirReg
	.globl	fft_rtc_back_len900_factors_10_10_3_3_wgs_180_tpt_90_halfLds_dp_ip_CI_unitstride_sbrr_R2C_dirReg
	.p2align	8
	.type	fft_rtc_back_len900_factors_10_10_3_3_wgs_180_tpt_90_halfLds_dp_ip_CI_unitstride_sbrr_R2C_dirReg,@function
fft_rtc_back_len900_factors_10_10_3_3_wgs_180_tpt_90_halfLds_dp_ip_CI_unitstride_sbrr_R2C_dirReg: ; @fft_rtc_back_len900_factors_10_10_3_3_wgs_180_tpt_90_halfLds_dp_ip_CI_unitstride_sbrr_R2C_dirReg
; %bb.0:
	s_load_dwordx2 s[12:13], s[4:5], 0x50
	s_load_dwordx4 s[8:11], s[4:5], 0x0
	s_load_dwordx2 s[2:3], s[4:5], 0x18
	v_mul_u32_u24_e32 v1, 0x2d9, v0
	v_lshrrev_b32_e32 v9, 16, v1
	v_mov_b32_e32 v3, 0
	s_waitcnt lgkmcnt(0)
	v_cmp_lt_u64_e64 s[0:1], s[10:11], 2
	v_mov_b32_e32 v1, 0
	v_lshl_add_u32 v5, s6, 1, v9
	v_mov_b32_e32 v6, v3
	s_and_b64 vcc, exec, s[0:1]
	v_mov_b32_e32 v2, 0
	s_cbranch_vccnz .LBB0_8
; %bb.1:
	s_load_dwordx2 s[0:1], s[4:5], 0x10
	s_add_u32 s6, s2, 8
	s_addc_u32 s7, s3, 0
	v_mov_b32_e32 v1, 0
	v_mov_b32_e32 v2, 0
	s_waitcnt lgkmcnt(0)
	s_add_u32 s14, s0, 8
	s_addc_u32 s15, s1, 0
	s_mov_b64 s[16:17], 1
.LBB0_2:                                ; =>This Inner Loop Header: Depth=1
	s_load_dwordx2 s[18:19], s[14:15], 0x0
                                        ; implicit-def: $vgpr7_vgpr8
	s_waitcnt lgkmcnt(0)
	v_or_b32_e32 v4, s19, v6
	v_cmp_ne_u64_e32 vcc, 0, v[3:4]
	s_and_saveexec_b64 s[0:1], vcc
	s_xor_b64 s[20:21], exec, s[0:1]
	s_cbranch_execz .LBB0_4
; %bb.3:                                ;   in Loop: Header=BB0_2 Depth=1
	v_cvt_f32_u32_e32 v4, s18
	v_cvt_f32_u32_e32 v7, s19
	s_sub_u32 s0, 0, s18
	s_subb_u32 s1, 0, s19
	v_mac_f32_e32 v4, 0x4f800000, v7
	v_rcp_f32_e32 v4, v4
	v_mul_f32_e32 v4, 0x5f7ffffc, v4
	v_mul_f32_e32 v7, 0x2f800000, v4
	v_trunc_f32_e32 v7, v7
	v_mac_f32_e32 v4, 0xcf800000, v7
	v_cvt_u32_f32_e32 v7, v7
	v_cvt_u32_f32_e32 v4, v4
	v_mul_lo_u32 v8, s0, v7
	v_mul_hi_u32 v10, s0, v4
	v_mul_lo_u32 v12, s1, v4
	v_mul_lo_u32 v11, s0, v4
	v_add_u32_e32 v8, v10, v8
	v_add_u32_e32 v8, v8, v12
	v_mul_hi_u32 v10, v4, v11
	v_mul_lo_u32 v12, v4, v8
	v_mul_hi_u32 v14, v4, v8
	v_mul_hi_u32 v13, v7, v11
	v_mul_lo_u32 v11, v7, v11
	v_mul_hi_u32 v15, v7, v8
	v_add_co_u32_e32 v10, vcc, v10, v12
	v_addc_co_u32_e32 v12, vcc, 0, v14, vcc
	v_mul_lo_u32 v8, v7, v8
	v_add_co_u32_e32 v10, vcc, v10, v11
	v_addc_co_u32_e32 v10, vcc, v12, v13, vcc
	v_addc_co_u32_e32 v11, vcc, 0, v15, vcc
	v_add_co_u32_e32 v8, vcc, v10, v8
	v_addc_co_u32_e32 v10, vcc, 0, v11, vcc
	v_add_co_u32_e32 v4, vcc, v4, v8
	v_addc_co_u32_e32 v7, vcc, v7, v10, vcc
	v_mul_lo_u32 v8, s0, v7
	v_mul_hi_u32 v10, s0, v4
	v_mul_lo_u32 v11, s1, v4
	v_mul_lo_u32 v12, s0, v4
	v_add_u32_e32 v8, v10, v8
	v_add_u32_e32 v8, v8, v11
	v_mul_lo_u32 v13, v4, v8
	v_mul_hi_u32 v14, v4, v12
	v_mul_hi_u32 v15, v4, v8
	;; [unrolled: 1-line block ×3, first 2 shown]
	v_mul_lo_u32 v12, v7, v12
	v_mul_hi_u32 v10, v7, v8
	v_add_co_u32_e32 v13, vcc, v14, v13
	v_addc_co_u32_e32 v14, vcc, 0, v15, vcc
	v_mul_lo_u32 v8, v7, v8
	v_add_co_u32_e32 v12, vcc, v13, v12
	v_addc_co_u32_e32 v11, vcc, v14, v11, vcc
	v_addc_co_u32_e32 v10, vcc, 0, v10, vcc
	v_add_co_u32_e32 v8, vcc, v11, v8
	v_addc_co_u32_e32 v10, vcc, 0, v10, vcc
	v_add_co_u32_e32 v4, vcc, v4, v8
	v_addc_co_u32_e32 v10, vcc, v7, v10, vcc
	v_mad_u64_u32 v[7:8], s[0:1], v5, v10, 0
	v_mul_hi_u32 v11, v5, v4
	v_add_co_u32_e32 v12, vcc, v11, v7
	v_addc_co_u32_e32 v13, vcc, 0, v8, vcc
	v_mad_u64_u32 v[7:8], s[0:1], v6, v4, 0
	v_mad_u64_u32 v[10:11], s[0:1], v6, v10, 0
	v_add_co_u32_e32 v4, vcc, v12, v7
	v_addc_co_u32_e32 v4, vcc, v13, v8, vcc
	v_addc_co_u32_e32 v7, vcc, 0, v11, vcc
	v_add_co_u32_e32 v4, vcc, v4, v10
	v_addc_co_u32_e32 v10, vcc, 0, v7, vcc
	v_mul_lo_u32 v11, s19, v4
	v_mul_lo_u32 v12, s18, v10
	v_mad_u64_u32 v[7:8], s[0:1], s18, v4, 0
	v_add3_u32 v8, v8, v12, v11
	v_sub_u32_e32 v11, v6, v8
	v_mov_b32_e32 v12, s19
	v_sub_co_u32_e32 v7, vcc, v5, v7
	v_subb_co_u32_e64 v11, s[0:1], v11, v12, vcc
	v_subrev_co_u32_e64 v12, s[0:1], s18, v7
	v_subbrev_co_u32_e64 v11, s[0:1], 0, v11, s[0:1]
	v_cmp_le_u32_e64 s[0:1], s19, v11
	v_cndmask_b32_e64 v13, 0, -1, s[0:1]
	v_cmp_le_u32_e64 s[0:1], s18, v12
	v_cndmask_b32_e64 v12, 0, -1, s[0:1]
	v_cmp_eq_u32_e64 s[0:1], s19, v11
	v_cndmask_b32_e64 v11, v13, v12, s[0:1]
	v_add_co_u32_e64 v12, s[0:1], 2, v4
	v_addc_co_u32_e64 v13, s[0:1], 0, v10, s[0:1]
	v_add_co_u32_e64 v14, s[0:1], 1, v4
	v_addc_co_u32_e64 v15, s[0:1], 0, v10, s[0:1]
	v_subb_co_u32_e32 v8, vcc, v6, v8, vcc
	v_cmp_ne_u32_e64 s[0:1], 0, v11
	v_cmp_le_u32_e32 vcc, s19, v8
	v_cndmask_b32_e64 v11, v15, v13, s[0:1]
	v_cndmask_b32_e64 v13, 0, -1, vcc
	v_cmp_le_u32_e32 vcc, s18, v7
	v_cndmask_b32_e64 v7, 0, -1, vcc
	v_cmp_eq_u32_e32 vcc, s19, v8
	v_cndmask_b32_e32 v7, v13, v7, vcc
	v_cmp_ne_u32_e32 vcc, 0, v7
	v_cndmask_b32_e64 v7, v14, v12, s[0:1]
	v_cndmask_b32_e32 v8, v10, v11, vcc
	v_cndmask_b32_e32 v7, v4, v7, vcc
.LBB0_4:                                ;   in Loop: Header=BB0_2 Depth=1
	s_andn2_saveexec_b64 s[0:1], s[20:21]
	s_cbranch_execz .LBB0_6
; %bb.5:                                ;   in Loop: Header=BB0_2 Depth=1
	v_cvt_f32_u32_e32 v4, s18
	s_sub_i32 s20, 0, s18
	v_rcp_iflag_f32_e32 v4, v4
	v_mul_f32_e32 v4, 0x4f7ffffe, v4
	v_cvt_u32_f32_e32 v4, v4
	v_mul_lo_u32 v7, s20, v4
	v_mul_hi_u32 v7, v4, v7
	v_add_u32_e32 v4, v4, v7
	v_mul_hi_u32 v4, v5, v4
	v_mul_lo_u32 v7, v4, s18
	v_add_u32_e32 v8, 1, v4
	v_sub_u32_e32 v7, v5, v7
	v_subrev_u32_e32 v10, s18, v7
	v_cmp_le_u32_e32 vcc, s18, v7
	v_cndmask_b32_e32 v7, v7, v10, vcc
	v_cndmask_b32_e32 v4, v4, v8, vcc
	v_add_u32_e32 v8, 1, v4
	v_cmp_le_u32_e32 vcc, s18, v7
	v_cndmask_b32_e32 v7, v4, v8, vcc
	v_mov_b32_e32 v8, v3
.LBB0_6:                                ;   in Loop: Header=BB0_2 Depth=1
	s_or_b64 exec, exec, s[0:1]
	v_mul_lo_u32 v4, v8, s18
	v_mul_lo_u32 v12, v7, s19
	v_mad_u64_u32 v[10:11], s[0:1], v7, s18, 0
	s_load_dwordx2 s[0:1], s[6:7], 0x0
	s_add_u32 s16, s16, 1
	v_add3_u32 v4, v11, v12, v4
	v_sub_co_u32_e32 v5, vcc, v5, v10
	v_subb_co_u32_e32 v4, vcc, v6, v4, vcc
	s_waitcnt lgkmcnt(0)
	v_mul_lo_u32 v4, s0, v4
	v_mul_lo_u32 v6, s1, v5
	v_mad_u64_u32 v[1:2], s[0:1], s0, v5, v[1:2]
	s_addc_u32 s17, s17, 0
	s_add_u32 s6, s6, 8
	v_add3_u32 v2, v6, v2, v4
	v_mov_b32_e32 v4, s10
	v_mov_b32_e32 v5, s11
	s_addc_u32 s7, s7, 0
	v_cmp_ge_u64_e32 vcc, s[16:17], v[4:5]
	s_add_u32 s14, s14, 8
	s_addc_u32 s15, s15, 0
	s_cbranch_vccnz .LBB0_9
; %bb.7:                                ;   in Loop: Header=BB0_2 Depth=1
	v_mov_b32_e32 v5, v7
	v_mov_b32_e32 v6, v8
	s_branch .LBB0_2
.LBB0_8:
	v_mov_b32_e32 v8, v6
	v_mov_b32_e32 v7, v5
.LBB0_9:
	s_lshl_b64 s[0:1], s[10:11], 3
	s_add_u32 s0, s2, s0
	s_addc_u32 s1, s3, s1
	s_load_dwordx2 s[2:3], s[0:1], 0x0
	s_load_dwordx2 s[6:7], s[4:5], 0x20
	v_and_b32_e32 v5, 1, v9
	v_cmp_eq_u32_e32 vcc, 1, v5
                                        ; implicit-def: $vgpr52
                                        ; implicit-def: $vgpr55
                                        ; implicit-def: $vgpr54
	s_waitcnt lgkmcnt(0)
	v_mul_lo_u32 v3, s2, v8
	v_mul_lo_u32 v4, s3, v7
	v_mad_u64_u32 v[1:2], s[0:1], s2, v7, v[1:2]
	s_mov_b32 s0, 0x2d82d83
	v_cmp_le_u64_e64 s[2:3], s[6:7], v[7:8]
	v_add3_u32 v2, v4, v2, v3
	v_mul_hi_u32 v4, v0, s0
	v_cmp_gt_u64_e64 s[0:1], s[6:7], v[7:8]
	v_mov_b32_e32 v3, 0x385
	v_mul_u32_u24_e32 v4, 0x5a, v4
	v_sub_u32_e32 v48, v0, v4
	s_and_saveexec_b64 s[4:5], s[2:3]
	s_xor_b64 s[2:3], exec, s[4:5]
; %bb.10:
	v_add_u32_e32 v52, 0x5a, v48
	v_add_u32_e32 v55, 0xb4, v48
	;; [unrolled: 1-line block ×3, first 2 shown]
; %bb.11:
	s_or_saveexec_b64 s[2:3], s[2:3]
	v_cndmask_b32_e32 v0, 0, v3, vcc
	v_lshlrev_b64 v[50:51], 4, v[1:2]
	v_lshlrev_b32_e32 v60, 4, v0
	v_lshlrev_b32_e32 v53, 4, v48
	s_xor_b64 exec, exec, s[2:3]
	s_cbranch_execz .LBB0_13
; %bb.12:
	v_mov_b32_e32 v49, 0
	v_mov_b32_e32 v0, s13
	v_add_co_u32_e32 v2, vcc, s12, v50
	v_addc_co_u32_e32 v3, vcc, v0, v51, vcc
	v_lshlrev_b64 v[0:1], 4, v[48:49]
	s_movk_i32 s4, 0x1000
	v_add_co_u32_e32 v35, vcc, v2, v0
	v_addc_co_u32_e32 v36, vcc, v3, v1, vcc
	v_add_co_u32_e32 v24, vcc, s4, v35
	v_addc_co_u32_e32 v25, vcc, 0, v36, vcc
	;; [unrolled: 2-line block ×4, first 2 shown]
	global_load_dwordx4 v[0:3], v[35:36], off
	global_load_dwordx4 v[4:7], v[35:36], off offset:1440
	global_load_dwordx4 v[8:11], v[35:36], off offset:2880
	;; [unrolled: 1-line block ×5, first 2 shown]
	s_nop 0
	global_load_dwordx4 v[24:27], v[32:33], off offset:448
	global_load_dwordx4 v[28:31], v[32:33], off offset:1888
	v_add3_u32 v40, 0, v60, v53
	global_load_dwordx4 v[32:35], v[32:33], off offset:3328
	v_add_u32_e32 v52, 0x5a, v48
	global_load_dwordx4 v[36:39], v[37:38], off offset:672
	v_add_u32_e32 v55, 0xb4, v48
	v_add_u32_e32 v54, 0x10e, v48
	s_waitcnt vmcnt(9)
	ds_write_b128 v40, v[0:3]
	s_waitcnt vmcnt(8)
	ds_write_b128 v40, v[4:7] offset:1440
	s_waitcnt vmcnt(7)
	ds_write_b128 v40, v[8:11] offset:2880
	;; [unrolled: 2-line block ×9, first 2 shown]
.LBB0_13:
	s_or_b64 exec, exec, s[2:3]
	v_add_u32_e32 v49, 0, v60
	v_add_u32_e32 v58, v49, v53
	v_add3_u32 v59, 0, v53, v60
	s_waitcnt lgkmcnt(0)
	s_barrier
	ds_read_b128 v[14:17], v58
	ds_read_b128 v[8:11], v59 offset:1440
	ds_read_b128 v[18:21], v59 offset:2880
	;; [unrolled: 1-line block ×9, first 2 shown]
	s_waitcnt lgkmcnt(5)
	v_add_f64 v[42:43], v[22:23], v[26:27]
	v_add_f64 v[12:13], v[14:15], v[18:19]
	v_add_f64 v[56:57], v[24:25], -v[28:29]
	s_waitcnt lgkmcnt(1)
	v_add_f64 v[61:62], v[18:19], v[38:39]
	v_add_f64 v[44:45], v[20:21], -v[40:41]
	v_add_f64 v[63:64], v[18:19], -v[22:23]
	;; [unrolled: 1-line block ×3, first 2 shown]
	s_mov_b32 s10, 0x134454ff
	v_fma_f64 v[42:43], v[42:43], -0.5, v[14:15]
	s_mov_b32 s11, 0xbfee6f0e
	s_mov_b32 s3, 0x3fee6f0e
	v_fma_f64 v[14:15], v[61:62], -0.5, v[14:15]
	s_mov_b32 s2, s10
	v_add_f64 v[12:13], v[12:13], v[22:23]
	v_add_f64 v[61:62], v[63:64], v[65:66]
	v_add_f64 v[65:66], v[22:23], -v[18:19]
	v_fma_f64 v[46:47], v[44:45], s[10:11], v[42:43]
	v_fma_f64 v[42:43], v[44:45], s[2:3], v[42:43]
	v_add_f64 v[67:68], v[26:27], -v[38:39]
	v_fma_f64 v[63:64], v[56:57], s[2:3], v[14:15]
	v_fma_f64 v[14:15], v[56:57], s[10:11], v[14:15]
	v_add_f64 v[69:70], v[16:17], v[20:21]
	v_add_f64 v[71:72], v[24:25], v[28:29]
	s_mov_b32 s14, 0x4755a5e
	s_mov_b32 s15, 0xbfe2cf23
	;; [unrolled: 1-line block ×4, first 2 shown]
	v_add_f64 v[12:13], v[12:13], v[26:27]
	v_fma_f64 v[46:47], v[56:57], s[14:15], v[46:47]
	v_fma_f64 v[42:43], v[56:57], s[6:7], v[42:43]
	;; [unrolled: 1-line block ×3, first 2 shown]
	v_add_f64 v[63:64], v[65:66], v[67:68]
	v_add_f64 v[65:66], v[20:21], v[40:41]
	v_fma_f64 v[14:15], v[44:45], s[6:7], v[14:15]
	v_add_f64 v[44:45], v[69:70], v[24:25]
	v_fma_f64 v[67:68], v[71:72], -0.5, v[16:17]
	v_add_f64 v[18:19], v[18:19], -v[38:39]
	s_mov_b32 s4, 0x372fe950
	s_mov_b32 s5, 0x3fd3c6ef
	v_add_f64 v[12:13], v[12:13], v[38:39]
	v_fma_f64 v[38:39], v[61:62], s[4:5], v[46:47]
	v_fma_f64 v[42:43], v[61:62], s[4:5], v[42:43]
	v_add_f64 v[22:23], v[22:23], -v[26:27]
	v_fma_f64 v[16:17], v[65:66], -0.5, v[16:17]
	v_fma_f64 v[26:27], v[63:64], s[4:5], v[56:57]
	v_fma_f64 v[46:47], v[63:64], s[4:5], v[14:15]
	v_add_f64 v[14:15], v[44:45], v[28:29]
	v_fma_f64 v[44:45], v[18:19], s[2:3], v[67:68]
	v_add_f64 v[56:57], v[20:21], -v[24:25]
	v_add_f64 v[61:62], v[40:41], -v[28:29]
	v_fma_f64 v[63:64], v[18:19], s[10:11], v[67:68]
	v_add_f64 v[20:21], v[24:25], -v[20:21]
	v_add_f64 v[24:25], v[28:29], -v[40:41]
	v_add_f64 v[28:29], v[8:9], v[30:31]
	v_fma_f64 v[65:66], v[22:23], s[10:11], v[16:17]
	v_fma_f64 v[44:45], v[22:23], s[6:7], v[44:45]
	;; [unrolled: 1-line block ×3, first 2 shown]
	v_add_f64 v[56:57], v[56:57], v[61:62]
	v_fma_f64 v[61:62], v[22:23], s[14:15], v[63:64]
	v_add_f64 v[67:68], v[0:1], v[34:35]
	v_add_f64 v[20:21], v[20:21], v[24:25]
	;; [unrolled: 1-line block ×3, first 2 shown]
	v_fma_f64 v[63:64], v[18:19], s[6:7], v[65:66]
	s_waitcnt lgkmcnt(0)
	v_add_f64 v[28:29], v[32:33], -v[6:7]
	v_fma_f64 v[16:17], v[18:19], s[14:15], v[16:17]
	v_add_f64 v[40:41], v[14:15], v[40:41]
	v_fma_f64 v[44:45], v[56:57], s[4:5], v[44:45]
	v_fma_f64 v[24:25], v[67:68], -0.5, v[8:9]
	v_fma_f64 v[14:15], v[56:57], s[4:5], v[61:62]
	v_add_f64 v[18:19], v[22:23], v[34:35]
	v_add_f64 v[22:23], v[2:3], v[36:37]
	v_fma_f64 v[56:57], v[20:21], s[4:5], v[63:64]
	v_add_f64 v[65:66], v[30:31], -v[0:1]
	v_add_f64 v[67:68], v[4:5], -v[34:35]
	v_fma_f64 v[69:70], v[20:21], s[4:5], v[16:17]
	v_add_f64 v[16:17], v[30:31], v[4:5]
	v_add_f64 v[20:21], v[30:31], -v[4:5]
	v_add_f64 v[71:72], v[18:19], v[4:5]
	v_fma_f64 v[18:19], v[22:23], -0.5, v[10:11]
	v_add_f64 v[22:23], v[32:33], v[6:7]
	v_fma_f64 v[61:62], v[28:29], s[10:11], v[24:25]
	v_add_f64 v[63:64], v[2:3], -v[36:37]
	v_add_f64 v[65:66], v[65:66], v[67:68]
	v_fma_f64 v[24:25], v[28:29], s[2:3], v[24:25]
	v_fma_f64 v[8:9], v[16:17], -0.5, v[8:9]
	v_add_f64 v[16:17], v[0:1], -v[30:31]
	v_add_f64 v[30:31], v[10:11], v[32:33]
	v_fma_f64 v[67:68], v[20:21], s[2:3], v[18:19]
	v_fma_f64 v[10:11], v[22:23], -0.5, v[10:11]
	v_add_f64 v[0:1], v[0:1], -v[34:35]
	v_add_f64 v[22:23], v[32:33], -v[2:3]
	;; [unrolled: 1-line block ×3, first 2 shown]
	v_fma_f64 v[61:62], v[63:64], s[14:15], v[61:62]
	v_add_f64 v[32:33], v[2:3], -v[32:33]
	v_fma_f64 v[24:25], v[63:64], s[6:7], v[24:25]
	v_add_f64 v[2:3], v[30:31], v[2:3]
	v_fma_f64 v[30:31], v[63:64], s[2:3], v[8:9]
	v_add_f64 v[4:5], v[34:35], -v[4:5]
	v_fma_f64 v[8:9], v[63:64], s[10:11], v[8:9]
	v_fma_f64 v[34:35], v[0:1], s[6:7], v[67:68]
	v_add_f64 v[22:23], v[22:23], v[73:74]
	v_fma_f64 v[63:64], v[0:1], s[10:11], v[10:11]
	v_add_f64 v[67:68], v[36:37], -v[6:7]
	v_fma_f64 v[10:11], v[0:1], s[2:3], v[10:11]
	v_fma_f64 v[18:19], v[20:21], s[10:11], v[18:19]
	;; [unrolled: 1-line block ×3, first 2 shown]
	v_add_f64 v[4:5], v[16:17], v[4:5]
	v_fma_f64 v[8:9], v[28:29], s[6:7], v[8:9]
	v_fma_f64 v[16:17], v[22:23], s[4:5], v[34:35]
	;; [unrolled: 1-line block ×3, first 2 shown]
	v_add_f64 v[32:33], v[32:33], v[67:68]
	v_fma_f64 v[10:11], v[20:21], s[14:15], v[10:11]
	v_add_f64 v[2:3], v[2:3], v[36:37]
	v_fma_f64 v[0:1], v[0:1], s[14:15], v[18:19]
	v_fma_f64 v[61:62], v[65:66], s[4:5], v[61:62]
	;; [unrolled: 1-line block ×5, first 2 shown]
	v_mul_f64 v[4:5], v[16:17], s[14:15]
	v_fma_f64 v[24:25], v[32:33], s[4:5], v[28:29]
	v_fma_f64 v[10:11], v[32:33], s[4:5], v[10:11]
	v_add_f64 v[30:31], v[2:3], v[6:7]
	v_fma_f64 v[2:3], v[22:23], s[4:5], v[0:1]
	s_mov_b32 s18, 0x9b97f4a8
	s_mov_b32 s19, 0x3fe9e377
	v_mul_f64 v[32:33], v[61:62], s[6:7]
	v_fma_f64 v[28:29], v[61:62], s[18:19], v[4:5]
	v_mul_f64 v[4:5], v[24:25], s[10:11]
	s_mov_b32 s17, 0xbfd3c6ef
	s_mov_b32 s16, s4
	v_mul_f64 v[24:25], v[24:25], s[4:5]
	v_mul_f64 v[6:7], v[10:11], s[10:11]
	s_mov_b32 s21, 0xbfe9e377
	s_mov_b32 s20, s18
	v_mul_f64 v[10:11], v[10:11], s[16:17]
	v_mul_f64 v[22:23], v[2:3], s[14:15]
	;; [unrolled: 1-line block ×3, first 2 shown]
	v_fma_f64 v[63:64], v[16:17], s[18:19], v[32:33]
	v_fma_f64 v[34:35], v[20:21], s[4:5], v[4:5]
	;; [unrolled: 1-line block ×4, first 2 shown]
	v_add_f64 v[0:1], v[12:13], v[71:72]
	v_fma_f64 v[67:68], v[8:9], s[2:3], v[10:11]
	v_fma_f64 v[61:62], v[18:19], s[20:21], v[22:23]
	;; [unrolled: 1-line block ×3, first 2 shown]
	v_add_f64 v[2:3], v[40:41], v[30:31]
	v_add_f64 v[4:5], v[38:39], v[28:29]
	;; [unrolled: 1-line block ×9, first 2 shown]
	v_add_f64 v[24:25], v[12:13], -v[71:72]
	v_add_f64 v[32:33], v[26:27], -v[34:35]
	;; [unrolled: 1-line block ×5, first 2 shown]
	s_movk_i32 s22, 0x90
	v_add_f64 v[34:35], v[56:57], -v[65:66]
	v_mad_u32_u24 v40, v48, s22, v59
	s_movk_i32 s22, 0xcd
	v_add_f64 v[36:37], v[46:47], -v[36:37]
	v_add_f64 v[12:13], v[42:43], -v[61:62]
	;; [unrolled: 1-line block ×4, first 2 shown]
	s_barrier
	ds_write_b128 v40, v[0:3]
	ds_write_b128 v40, v[4:7] offset:16
	ds_write_b128 v40, v[8:11] offset:32
	;; [unrolled: 1-line block ×9, first 2 shown]
	v_mul_lo_u16_sdwa v0, v48, s22 dst_sel:DWORD dst_unused:UNUSED_PAD src0_sel:BYTE_0 src1_sel:DWORD
	v_lshrrev_b16_e32 v7, 11, v0
	v_mul_lo_u16_e32 v0, 10, v7
	v_sub_u16_e32 v6, v48, v0
	v_mov_b32_e32 v0, 9
	v_mul_u32_u24_sdwa v0, v6, v0 dst_sel:DWORD dst_unused:UNUSED_PAD src0_sel:BYTE_0 src1_sel:DWORD
	v_lshlrev_b32_e32 v4, 4, v0
	s_waitcnt lgkmcnt(0)
	s_barrier
	global_load_dwordx4 v[0:3], v4, s[8:9]
	global_load_dwordx4 v[8:11], v4, s[8:9] offset:16
	global_load_dwordx4 v[12:15], v4, s[8:9] offset:32
	;; [unrolled: 1-line block ×8, first 2 shown]
	v_lshl_add_u32 v63, v52, 4, v49
	ds_read_b128 v[40:43], v63
	ds_read_b128 v[44:47], v59 offset:12960
	v_lshl_add_u32 v62, v55, 4, v49
	v_lshl_add_u32 v61, v54, 4, v49
	v_cmp_gt_u32_e32 vcc, 30, v48
	ds_read_b128 v[64:67], v61
	s_waitcnt vmcnt(8) lgkmcnt(2)
	v_mul_f64 v[56:57], v[42:43], v[2:3]
	v_mul_f64 v[68:69], v[40:41], v[2:3]
	ds_read_b128 v[2:5], v62
	s_waitcnt vmcnt(6) lgkmcnt(1)
	v_mul_f64 v[70:71], v[66:67], v[14:15]
	v_mul_f64 v[14:15], v[64:65], v[14:15]
	v_fma_f64 v[56:57], v[40:41], v[0:1], v[56:57]
	v_fma_f64 v[68:69], v[42:43], v[0:1], -v[68:69]
	s_waitcnt lgkmcnt(0)
	v_mul_f64 v[0:1], v[4:5], v[10:11]
	v_mul_f64 v[10:11], v[2:3], v[10:11]
	ds_read_b128 v[40:43], v59 offset:5760
	v_fma_f64 v[64:65], v[64:65], v[12:13], v[70:71]
	v_fma_f64 v[66:67], v[66:67], v[12:13], -v[14:15]
	v_fma_f64 v[72:73], v[2:3], v[8:9], v[0:1]
	ds_read_b128 v[0:3], v59 offset:7200
	s_waitcnt vmcnt(5) lgkmcnt(1)
	v_mul_f64 v[12:13], v[42:43], v[18:19]
	v_mul_f64 v[14:15], v[40:41], v[18:19]
	v_fma_f64 v[4:5], v[4:5], v[8:9], -v[10:11]
	ds_read_b128 v[8:11], v59 offset:8640
	s_waitcnt vmcnt(4) lgkmcnt(1)
	v_mul_f64 v[18:19], v[2:3], v[22:23]
	v_mul_f64 v[22:23], v[0:1], v[22:23]
	v_fma_f64 v[40:41], v[40:41], v[16:17], v[12:13]
	v_fma_f64 v[16:17], v[42:43], v[16:17], -v[14:15]
	ds_read_b128 v[12:15], v59 offset:11520
	v_fma_f64 v[18:19], v[0:1], v[20:21], v[18:19]
	v_fma_f64 v[20:21], v[2:3], v[20:21], -v[22:23]
	ds_read_b128 v[0:3], v58
	s_waitcnt vmcnt(3) lgkmcnt(2)
	v_mul_f64 v[70:71], v[10:11], v[26:27]
	v_mul_f64 v[26:27], v[8:9], v[26:27]
	v_fma_f64 v[22:23], v[8:9], v[24:25], v[70:71]
	v_fma_f64 v[24:25], v[10:11], v[24:25], -v[26:27]
	ds_read_b128 v[8:11], v59 offset:10080
	s_waitcnt vmcnt(2) lgkmcnt(2)
	v_mul_f64 v[42:43], v[12:13], v[30:31]
	v_mul_f64 v[30:31], v[14:15], v[30:31]
	s_waitcnt lgkmcnt(1)
	v_add_f64 v[26:27], v[0:1], v[72:73]
	s_waitcnt vmcnt(0) lgkmcnt(0)
	s_barrier
	v_add_f64 v[70:71], v[40:41], v[22:23]
	v_fma_f64 v[14:15], v[14:15], v[28:29], -v[42:43]
	v_mul_f64 v[42:43], v[10:11], v[34:35]
	v_fma_f64 v[12:13], v[12:13], v[28:29], v[30:31]
	v_mul_f64 v[28:29], v[8:9], v[34:35]
	v_mul_f64 v[30:31], v[46:47], v[38:39]
	;; [unrolled: 1-line block ×3, first 2 shown]
	v_add_f64 v[26:27], v[26:27], v[40:41]
	v_fma_f64 v[38:39], v[70:71], -0.5, v[0:1]
	v_add_f64 v[70:71], v[4:5], -v[14:15]
	v_fma_f64 v[8:9], v[8:9], v[32:33], v[42:43]
	v_add_f64 v[42:43], v[72:73], -v[40:41]
	v_fma_f64 v[10:11], v[10:11], v[32:33], -v[28:29]
	v_add_f64 v[32:33], v[72:73], v[12:13]
	v_fma_f64 v[28:29], v[44:45], v[36:37], v[30:31]
	v_fma_f64 v[30:31], v[46:47], v[36:37], -v[34:35]
	v_add_f64 v[26:27], v[26:27], v[22:23]
	v_fma_f64 v[34:35], v[70:71], s[10:11], v[38:39]
	v_add_f64 v[36:37], v[16:17], -v[24:25]
	v_add_f64 v[44:45], v[12:13], -v[22:23]
	v_fma_f64 v[38:39], v[70:71], s[2:3], v[38:39]
	v_fma_f64 v[0:1], v[32:33], -0.5, v[0:1]
	v_add_f64 v[46:47], v[40:41], -v[72:73]
	v_add_f64 v[74:75], v[22:23], -v[12:13]
	v_add_f64 v[32:33], v[26:27], v[12:13]
	v_add_f64 v[12:13], v[72:73], -v[12:13]
	v_fma_f64 v[26:27], v[36:37], s[14:15], v[34:35]
	v_add_f64 v[34:35], v[42:43], v[44:45]
	v_add_f64 v[42:43], v[16:17], v[24:25]
	v_fma_f64 v[44:45], v[36:37], s[2:3], v[0:1]
	v_fma_f64 v[0:1], v[36:37], s[10:11], v[0:1]
	v_add_f64 v[72:73], v[2:3], v[4:5]
	v_add_f64 v[22:23], v[40:41], -v[22:23]
	v_add_f64 v[40:41], v[14:15], -v[24:25]
	v_fma_f64 v[76:77], v[34:35], s[4:5], v[26:27]
	v_fma_f64 v[42:43], v[42:43], -0.5, v[2:3]
	v_fma_f64 v[26:27], v[36:37], s[6:7], v[38:39]
	v_fma_f64 v[36:37], v[70:71], s[14:15], v[44:45]
	v_add_f64 v[44:45], v[4:5], v[14:15]
	v_add_f64 v[38:39], v[46:47], v[74:75]
	v_fma_f64 v[0:1], v[70:71], s[6:7], v[0:1]
	v_add_f64 v[46:47], v[72:73], v[16:17]
	v_add_f64 v[72:73], v[28:29], -v[8:9]
	v_fma_f64 v[70:71], v[12:13], s[2:3], v[42:43]
	v_fma_f64 v[34:35], v[34:35], s[4:5], v[26:27]
	v_add_f64 v[26:27], v[4:5], -v[16:17]
	v_fma_f64 v[2:3], v[44:45], -0.5, v[2:3]
	v_fma_f64 v[36:37], v[38:39], s[4:5], v[36:37]
	v_fma_f64 v[0:1], v[38:39], s[4:5], v[0:1]
	v_add_f64 v[38:39], v[46:47], v[24:25]
	v_add_f64 v[46:47], v[56:57], v[64:65]
	v_fma_f64 v[44:45], v[22:23], s[6:7], v[70:71]
	v_add_f64 v[70:71], v[18:19], v[8:9]
	v_add_f64 v[26:27], v[26:27], v[40:41]
	v_fma_f64 v[40:41], v[12:13], s[10:11], v[42:43]
	v_fma_f64 v[42:43], v[22:23], s[10:11], v[2:3]
	v_add_f64 v[4:5], v[16:17], -v[4:5]
	v_add_f64 v[16:17], v[24:25], -v[14:15]
	v_fma_f64 v[2:3], v[22:23], s[2:3], v[2:3]
	v_add_f64 v[24:25], v[46:47], v[18:19]
	v_fma_f64 v[46:47], v[70:71], -0.5, v[56:57]
	v_add_f64 v[70:71], v[66:67], -v[30:31]
	v_add_f64 v[38:39], v[38:39], v[14:15]
	v_fma_f64 v[14:15], v[22:23], s[14:15], v[40:41]
	v_fma_f64 v[22:23], v[12:13], s[6:7], v[42:43]
	v_add_f64 v[4:5], v[4:5], v[16:17]
	v_fma_f64 v[12:13], v[12:13], s[14:15], v[2:3]
	v_add_f64 v[16:17], v[24:25], v[8:9]
	v_add_f64 v[40:41], v[20:21], -v[10:11]
	v_fma_f64 v[24:25], v[70:71], s[10:11], v[46:47]
	v_fma_f64 v[44:45], v[26:27], s[4:5], v[44:45]
	v_fma_f64 v[2:3], v[26:27], s[4:5], v[14:15]
	v_add_f64 v[14:15], v[64:65], v[28:29]
	v_fma_f64 v[74:75], v[4:5], s[4:5], v[22:23]
	v_fma_f64 v[4:5], v[4:5], s[4:5], v[12:13]
	v_add_f64 v[12:13], v[20:21], v[10:11]
	v_add_f64 v[42:43], v[64:65], -v[18:19]
	v_add_f64 v[78:79], v[16:17], v[28:29]
	v_fma_f64 v[16:17], v[40:41], s[14:15], v[24:25]
	v_add_f64 v[24:25], v[66:67], v[30:31]
	v_fma_f64 v[26:27], v[70:71], s[2:3], v[46:47]
	v_fma_f64 v[14:15], v[14:15], -0.5, v[56:57]
	v_add_f64 v[56:57], v[64:65], -v[28:29]
	v_fma_f64 v[12:13], v[12:13], -0.5, v[68:69]
	v_add_f64 v[22:23], v[42:43], v[72:73]
	v_add_f64 v[42:43], v[18:19], -v[64:65]
	v_add_f64 v[46:47], v[68:69], v[66:67]
	v_add_f64 v[64:65], v[66:67], -v[20:21]
	v_fma_f64 v[24:25], v[24:25], -0.5, v[68:69]
	v_add_f64 v[68:69], v[30:31], -v[10:11]
	v_add_f64 v[18:19], v[18:19], -v[8:9]
	v_fma_f64 v[26:27], v[40:41], s[6:7], v[26:27]
	v_add_f64 v[8:9], v[8:9], -v[28:29]
	v_fma_f64 v[28:29], v[40:41], s[2:3], v[14:15]
	v_fma_f64 v[14:15], v[40:41], s[10:11], v[14:15]
	;; [unrolled: 1-line block ×3, first 2 shown]
	v_add_f64 v[46:47], v[46:47], v[20:21]
	v_add_f64 v[64:65], v[64:65], v[68:69]
	v_fma_f64 v[68:69], v[18:19], s[10:11], v[24:25]
	v_add_f64 v[20:21], v[20:21], -v[66:67]
	v_add_f64 v[66:67], v[10:11], -v[30:31]
	v_fma_f64 v[24:25], v[18:19], s[2:3], v[24:25]
	v_fma_f64 v[12:13], v[56:57], s[10:11], v[12:13]
	;; [unrolled: 1-line block ×6, first 2 shown]
	v_add_f64 v[8:9], v[42:43], v[8:9]
	v_add_f64 v[20:21], v[20:21], v[66:67]
	v_fma_f64 v[24:25], v[56:57], s[14:15], v[24:25]
	v_fma_f64 v[12:13], v[18:19], s[14:15], v[12:13]
	;; [unrolled: 1-line block ×3, first 2 shown]
	v_add_f64 v[10:11], v[46:47], v[10:11]
	v_fma_f64 v[22:23], v[22:23], s[4:5], v[26:27]
	v_fma_f64 v[14:15], v[70:71], s[6:7], v[14:15]
	;; [unrolled: 1-line block ×6, first 2 shown]
	v_mul_f64 v[24:25], v[18:19], s[14:15]
	v_mul_f64 v[18:19], v[18:19], s[18:19]
	v_add_f64 v[30:31], v[10:11], v[30:31]
	v_fma_f64 v[14:15], v[8:9], s[4:5], v[14:15]
	v_add_f64 v[8:9], v[32:33], v[78:79]
	v_mul_f64 v[10:11], v[26:27], s[10:11]
	v_mul_f64 v[40:41], v[20:21], s[10:11]
	;; [unrolled: 1-line block ×3, first 2 shown]
	v_fma_f64 v[46:47], v[16:17], s[18:19], v[24:25]
	v_mul_f64 v[24:25], v[26:27], s[4:5]
	v_mul_f64 v[42:43], v[12:13], s[14:15]
	;; [unrolled: 1-line block ×3, first 2 shown]
	v_fma_f64 v[64:65], v[16:17], s[6:7], v[18:19]
	v_fma_f64 v[56:57], v[28:29], s[4:5], v[10:11]
	;; [unrolled: 1-line block ×4, first 2 shown]
	v_add_f64 v[10:11], v[38:39], v[30:31]
	v_fma_f64 v[66:67], v[28:29], s[2:3], v[24:25]
	v_fma_f64 v[42:43], v[22:23], s[20:21], v[42:43]
	;; [unrolled: 1-line block ×3, first 2 shown]
	v_add_f64 v[12:13], v[76:77], v[46:47]
	v_add_f64 v[14:15], v[44:45], v[64:65]
	;; [unrolled: 1-line block ×8, first 2 shown]
	v_add_f64 v[28:29], v[32:33], -v[78:79]
	v_add_f64 v[40:41], v[0:1], -v[40:41]
	;; [unrolled: 1-line block ×5, first 2 shown]
	s_movk_i32 s2, 0x640
	v_mov_b32_e32 v5, 4
	v_add_f64 v[32:33], v[76:77], -v[46:47]
	v_add_f64 v[34:35], v[44:45], -v[64:65]
	v_mad_u32_u24 v4, v7, s2, 0
	v_lshlrev_b32_sdwa v5, v5, v6 dst_sel:DWORD dst_unused:UNUSED_PAD src0_sel:DWORD src1_sel:BYTE_0
	v_add_f64 v[36:37], v[36:37], -v[56:57]
	v_add_f64 v[38:39], v[74:75], -v[66:67]
	v_add3_u32 v4, v4, v5, v60
	v_add_f64 v[2:3], v[2:3], -v[70:71]
	ds_write_b128 v4, v[8:11]
	ds_write_b128 v4, v[12:15] offset:160
	ds_write_b128 v4, v[16:19] offset:320
	;; [unrolled: 1-line block ×9, first 2 shown]
	s_waitcnt lgkmcnt(0)
	s_barrier
	ds_read_b128 v[12:15], v58
	ds_read_b128 v[44:47], v59 offset:4800
	ds_read_b128 v[40:43], v59 offset:9600
	;; [unrolled: 1-line block ×3, first 2 shown]
	ds_read_b128 v[4:7], v62
	ds_read_b128 v[36:39], v59 offset:6240
	ds_read_b128 v[28:31], v59 offset:7680
	ds_read_b128 v[8:11], v63
	ds_read_b128 v[24:27], v59 offset:12480
                                        ; implicit-def: $vgpr22_vgpr23
                                        ; implicit-def: $vgpr18_vgpr19
	s_and_saveexec_b64 s[2:3], vcc
	s_cbranch_execz .LBB0_15
; %bb.14:
	ds_read_b128 v[0:3], v61
	ds_read_b128 v[16:19], v59 offset:9120
	ds_read_b128 v[20:23], v59 offset:13920
.LBB0_15:
	s_or_b64 exec, exec, s[2:3]
	v_lshlrev_b32_e32 v71, 1, v48
	v_mov_b32_e32 v72, 0
	v_lshlrev_b64 v[56:57], 4, v[71:72]
	v_mov_b32_e32 v77, s9
	v_add_co_u32_e64 v56, s[2:3], s8, v56
	v_addc_co_u32_e64 v57, s[2:3], v77, v57, s[2:3]
	global_load_dwordx4 v[64:67], v[56:57], off offset:1456
	global_load_dwordx4 v[68:71], v[56:57], off offset:1440
	v_cmp_gt_u32_e64 s[2:3], 10, v48
	s_mov_b32 s5, 0x3febb67a
	s_waitcnt vmcnt(0) lgkmcnt(7)
	v_mul_f64 v[73:74], v[46:47], v[70:71]
	v_fma_f64 v[73:74], v[44:45], v[68:69], v[73:74]
	v_mul_f64 v[44:45], v[44:45], v[70:71]
	v_fma_f64 v[68:69], v[46:47], v[68:69], -v[44:45]
	s_waitcnt lgkmcnt(6)
	v_mul_f64 v[44:45], v[42:43], v[66:67]
	v_fma_f64 v[75:76], v[40:41], v[64:65], v[44:45]
	v_mul_f64 v[40:41], v[40:41], v[66:67]
	v_fma_f64 v[64:65], v[42:43], v[64:65], -v[40:41]
	v_add_u32_e32 v40, -10, v48
	v_cndmask_b32_e64 v91, v40, v52, s[2:3]
	v_lshlrev_b32_e32 v71, 1, v91
	v_lshlrev_b64 v[40:41], 4, v[71:72]
	v_add_co_u32_e64 v66, s[2:3], s8, v40
	v_addc_co_u32_e64 v67, s[2:3], v77, v41, s[2:3]
	global_load_dwordx4 v[40:43], v[66:67], off offset:1456
	global_load_dwordx4 v[44:47], v[66:67], off offset:1440
	s_mov_b32 s2, 0xe8584caa
	s_mov_b32 s3, 0xbfebb67a
	s_mov_b32 s4, s2
	s_waitcnt vmcnt(0) lgkmcnt(3)
	v_mul_f64 v[66:67], v[38:39], v[46:47]
	v_fma_f64 v[66:67], v[36:37], v[44:45], v[66:67]
	v_mul_f64 v[36:37], v[36:37], v[46:47]
	v_fma_f64 v[44:45], v[38:39], v[44:45], -v[36:37]
	v_mul_f64 v[36:37], v[34:35], v[42:43]
	v_fma_f64 v[46:47], v[32:33], v[40:41], v[36:37]
	v_mul_f64 v[32:33], v[32:33], v[42:43]
	v_fma_f64 v[40:41], v[34:35], v[40:41], -v[32:33]
	v_lshrrev_b16_e32 v32, 2, v55
	v_mul_u32_u24_e32 v32, 0x147b, v32
	v_lshrrev_b32_e32 v72, 17, v32
	v_mul_lo_u16_e32 v32, 0x64, v72
	v_sub_u16_e32 v92, v55, v32
	v_lshlrev_b32_e32 v42, 5, v92
	global_load_dwordx4 v[32:35], v42, s[8:9] offset:1456
	global_load_dwordx4 v[36:39], v42, s[8:9] offset:1440
	s_waitcnt vmcnt(0) lgkmcnt(2)
	v_mul_f64 v[42:43], v[30:31], v[38:39]
	v_fma_f64 v[70:71], v[28:29], v[36:37], v[42:43]
	v_mul_f64 v[28:29], v[28:29], v[38:39]
	v_fma_f64 v[77:78], v[30:31], v[36:37], -v[28:29]
	s_waitcnt lgkmcnt(0)
	v_mul_f64 v[28:29], v[26:27], v[34:35]
	v_fma_f64 v[79:80], v[24:25], v[32:33], v[28:29]
	v_mul_f64 v[24:25], v[24:25], v[34:35]
	v_fma_f64 v[81:82], v[26:27], v[32:33], -v[24:25]
	v_lshrrev_b16_e32 v24, 2, v54
	v_mul_u32_u24_e32 v24, 0x147b, v24
	v_lshrrev_b32_e32 v24, 17, v24
	v_mul_lo_u16_e32 v24, 0x64, v24
	v_sub_u16_e32 v24, v54, v24
	v_lshlrev_b32_e32 v33, 5, v24
	global_load_dwordx4 v[25:28], v33, s[8:9] offset:1456
	global_load_dwordx4 v[29:32], v33, s[8:9] offset:1440
	s_waitcnt vmcnt(0)
	s_barrier
	v_mul_f64 v[33:34], v[18:19], v[31:32]
	v_fma_f64 v[83:84], v[16:17], v[29:30], v[33:34]
	v_mul_f64 v[16:17], v[16:17], v[31:32]
	v_fma_f64 v[85:86], v[18:19], v[29:30], -v[16:17]
	v_mul_f64 v[16:17], v[22:23], v[27:28]
	v_add_f64 v[18:19], v[73:74], v[75:76]
	v_fma_f64 v[87:88], v[20:21], v[25:26], v[16:17]
	v_mul_f64 v[16:17], v[20:21], v[27:28]
	v_fma_f64 v[18:19], v[18:19], -0.5, v[12:13]
	v_add_f64 v[20:21], v[68:69], -v[64:65]
	v_add_f64 v[27:28], v[66:67], v[46:47]
	v_fma_f64 v[89:90], v[22:23], v[25:26], -v[16:17]
	v_add_f64 v[22:23], v[68:69], v[64:65]
	v_add_f64 v[25:26], v[73:74], -v[75:76]
	v_add_f64 v[16:17], v[12:13], v[73:74]
	v_fma_f64 v[12:13], v[20:21], s[2:3], v[18:19]
	v_fma_f64 v[20:21], v[20:21], s[4:5], v[18:19]
	v_add_f64 v[18:19], v[14:15], v[68:69]
	v_fma_f64 v[22:23], v[22:23], -0.5, v[14:15]
	v_add_f64 v[16:17], v[16:17], v[75:76]
	v_add_f64 v[18:19], v[18:19], v[64:65]
	v_fma_f64 v[14:15], v[25:26], s[4:5], v[22:23]
	v_fma_f64 v[22:23], v[25:26], s[2:3], v[22:23]
	v_add_f64 v[25:26], v[8:9], v[66:67]
	v_fma_f64 v[8:9], v[27:28], -0.5, v[8:9]
	v_add_f64 v[27:28], v[44:45], -v[40:41]
	ds_write_b128 v59, v[16:19]
	ds_write_b128 v59, v[12:15] offset:1600
	ds_write_b128 v59, v[20:23] offset:3200
	v_mov_b32_e32 v12, 0x12c0
	v_lshlrev_b32_e32 v13, 4, v91
	v_add_f64 v[25:26], v[25:26], v[46:47]
	v_fma_f64 v[29:30], v[27:28], s[2:3], v[8:9]
	v_fma_f64 v[33:34], v[27:28], s[4:5], v[8:9]
	v_add_f64 v[8:9], v[10:11], v[44:45]
	v_add_f64 v[27:28], v[8:9], v[40:41]
	;; [unrolled: 1-line block ×3, first 2 shown]
	v_fma_f64 v[8:9], v[8:9], -0.5, v[10:11]
	v_add_f64 v[10:11], v[66:67], -v[46:47]
	v_add_f64 v[45:46], v[83:84], -v[87:88]
	v_fma_f64 v[31:32], v[10:11], s[4:5], v[8:9]
	v_fma_f64 v[35:36], v[10:11], s[2:3], v[8:9]
	v_add_f64 v[8:9], v[4:5], v[70:71]
	v_add_f64 v[10:11], v[85:86], v[89:90]
	;; [unrolled: 1-line block ×4, first 2 shown]
	v_fma_f64 v[10:11], v[10:11], -0.5, v[2:3]
	v_fma_f64 v[4:5], v[8:9], -0.5, v[4:5]
	v_add_f64 v[8:9], v[77:78], -v[81:82]
	v_fma_f64 v[41:42], v[8:9], s[2:3], v[4:5]
	v_fma_f64 v[64:65], v[8:9], s[4:5], v[4:5]
	v_add_f64 v[4:5], v[6:7], v[77:78]
	v_add_f64 v[8:9], v[85:86], -v[89:90]
	v_add_f64 v[39:40], v[4:5], v[81:82]
	v_add_f64 v[4:5], v[77:78], v[81:82]
	v_fma_f64 v[4:5], v[4:5], -0.5, v[6:7]
	v_add_f64 v[6:7], v[70:71], -v[79:80]
	v_fma_f64 v[43:44], v[6:7], s[4:5], v[4:5]
	v_fma_f64 v[66:67], v[6:7], s[2:3], v[4:5]
	v_add_f64 v[6:7], v[83:84], v[87:88]
	v_add_f64 v[4:5], v[0:1], v[83:84]
	v_fma_f64 v[6:7], v[6:7], -0.5, v[0:1]
	v_add_f64 v[4:5], v[4:5], v[87:88]
	v_fma_f64 v[0:1], v[8:9], s[2:3], v[6:7]
	v_fma_f64 v[8:9], v[8:9], s[4:5], v[6:7]
	v_add_f64 v[6:7], v[2:3], v[85:86]
	v_fma_f64 v[2:3], v[45:46], s[4:5], v[10:11]
	v_fma_f64 v[10:11], v[45:46], s[2:3], v[10:11]
	v_cmp_lt_u32_e64 s[2:3], 9, v48
	v_cndmask_b32_e64 v12, 0, v12, s[2:3]
	v_add_u32_e32 v12, 0, v12
	s_movk_i32 s4, 0x12c0
	v_add3_u32 v12, v12, v13, v60
	v_add_f64 v[6:7], v[6:7], v[89:90]
	ds_write_b128 v12, v[25:28]
	ds_write_b128 v12, v[29:32] offset:1600
	ds_write_b128 v12, v[33:36] offset:3200
	v_mad_u32_u24 v12, v72, s4, 0
	v_lshlrev_b32_e32 v13, 4, v92
	v_add3_u32 v12, v12, v13, v60
	ds_write_b128 v12, v[37:40]
	ds_write_b128 v12, v[41:44] offset:1600
	ds_write_b128 v12, v[64:67] offset:3200
	s_and_saveexec_b64 s[2:3], vcc
	s_cbranch_execz .LBB0_17
; %bb.16:
	v_lshlrev_b32_e32 v12, 4, v24
	v_add3_u32 v12, 0, v12, v60
	ds_write_b128 v12, v[4:7] offset:9600
	ds_write_b128 v12, v[0:3] offset:11200
	;; [unrolled: 1-line block ×3, first 2 shown]
.LBB0_17:
	s_or_b64 exec, exec, s[2:3]
	s_waitcnt lgkmcnt(0)
	s_barrier
	ds_read_b128 v[20:23], v58
	ds_read_b128 v[44:47], v59 offset:4800
	ds_read_b128 v[40:43], v59 offset:9600
	;; [unrolled: 1-line block ×3, first 2 shown]
	ds_read_b128 v[12:15], v62
	ds_read_b128 v[36:39], v59 offset:6240
	ds_read_b128 v[28:31], v59 offset:7680
	ds_read_b128 v[16:19], v63
	ds_read_b128 v[24:27], v59 offset:12480
	s_and_saveexec_b64 s[2:3], vcc
	s_cbranch_execz .LBB0_19
; %bb.18:
	ds_read_b128 v[4:7], v61
	ds_read_b128 v[0:3], v59 offset:9120
	ds_read_b128 v[8:11], v59 offset:13920
.LBB0_19:
	s_or_b64 exec, exec, s[2:3]
	s_movk_i32 s4, 0x1220
	v_add_co_u32_e64 v72, s[2:3], s4, v56
	v_addc_co_u32_e64 v73, s[2:3], 0, v57, s[2:3]
	s_movk_i32 s10, 0x1000
	v_add_co_u32_e64 v56, s[2:3], s10, v56
	v_addc_co_u32_e64 v57, s[2:3], 0, v57, s[2:3]
	global_load_dwordx4 v[64:67], v[56:57], off offset:544
	global_load_dwordx4 v[68:71], v[72:73], off offset:16
	v_mov_b32_e32 v60, s9
	s_waitcnt vmcnt(1) lgkmcnt(7)
	v_mul_f64 v[56:57], v[46:47], v[66:67]
	v_fma_f64 v[56:57], v[44:45], v[64:65], v[56:57]
	v_mul_f64 v[44:45], v[44:45], v[66:67]
	v_fma_f64 v[46:47], v[46:47], v[64:65], -v[44:45]
	s_waitcnt vmcnt(0) lgkmcnt(6)
	v_mul_f64 v[44:45], v[42:43], v[70:71]
	v_fma_f64 v[72:73], v[40:41], v[68:69], v[44:45]
	v_mul_f64 v[40:41], v[40:41], v[70:71]
	v_fma_f64 v[68:69], v[42:43], v[68:69], -v[40:41]
	v_lshlrev_b32_e32 v40, 1, v52
	v_mov_b32_e32 v41, 0
	v_lshlrev_b64 v[42:43], 4, v[40:41]
	v_add_co_u32_e64 v40, s[2:3], s8, v42
	v_addc_co_u32_e64 v42, s[2:3], v60, v43, s[2:3]
	v_add_co_u32_e64 v70, s[2:3], s4, v40
	v_addc_co_u32_e64 v71, s[2:3], 0, v42, s[2:3]
	;; [unrolled: 2-line block ×3, first 2 shown]
	global_load_dwordx4 v[42:45], v[74:75], off offset:544
	global_load_dwordx4 v[64:67], v[70:71], off offset:16
	v_lshlrev_b32_e32 v40, 1, v55
	s_waitcnt vmcnt(1) lgkmcnt(3)
	v_mul_f64 v[70:71], v[38:39], v[44:45]
	v_fma_f64 v[70:71], v[36:37], v[42:43], v[70:71]
	v_mul_f64 v[36:37], v[36:37], v[44:45]
	v_fma_f64 v[42:43], v[38:39], v[42:43], -v[36:37]
	s_waitcnt vmcnt(0)
	v_mul_f64 v[36:37], v[34:35], v[66:67]
	v_fma_f64 v[44:45], v[32:33], v[64:65], v[36:37]
	v_mul_f64 v[32:33], v[32:33], v[66:67]
	v_fma_f64 v[64:65], v[34:35], v[64:65], -v[32:33]
	v_lshlrev_b64 v[32:33], 4, v[40:41]
	v_add_co_u32_e64 v32, s[2:3], s8, v32
	v_addc_co_u32_e64 v33, s[2:3], v60, v33, s[2:3]
	v_add_co_u32_e64 v66, s[2:3], s4, v32
	v_addc_co_u32_e64 v67, s[2:3], 0, v33, s[2:3]
	;; [unrolled: 2-line block ×3, first 2 shown]
	global_load_dwordx4 v[32:35], v[74:75], off offset:544
	global_load_dwordx4 v[36:39], v[66:67], off offset:16
	s_mov_b32 s2, 0xe8584caa
	s_mov_b32 s3, 0xbfebb67a
	;; [unrolled: 1-line block ×3, first 2 shown]
	s_waitcnt vmcnt(0) lgkmcnt(0)
	s_barrier
	v_mul_f64 v[66:67], v[30:31], v[34:35]
	v_fma_f64 v[66:67], v[28:29], v[32:33], v[66:67]
	v_mul_f64 v[28:29], v[28:29], v[34:35]
	v_add_f64 v[34:35], v[70:71], v[44:45]
	v_fma_f64 v[74:75], v[30:31], v[32:33], -v[28:29]
	v_mul_f64 v[28:29], v[26:27], v[38:39]
	v_add_f64 v[30:31], v[46:47], v[68:69]
	v_add_f64 v[32:33], v[56:57], -v[72:73]
	v_fma_f64 v[34:35], v[34:35], -0.5, v[16:17]
	v_fma_f64 v[76:77], v[24:25], v[36:37], v[28:29]
	v_mul_f64 v[24:25], v[24:25], v[38:39]
	v_add_f64 v[28:29], v[46:47], -v[68:69]
	v_fma_f64 v[30:31], v[30:31], -0.5, v[22:23]
	v_add_f64 v[38:39], v[42:43], v[64:65]
	v_fma_f64 v[78:79], v[26:27], v[36:37], -v[24:25]
	v_add_f64 v[26:27], v[56:57], v[72:73]
	v_add_f64 v[24:25], v[20:21], v[56:57]
	v_add_f64 v[36:37], v[42:43], -v[64:65]
	v_fma_f64 v[38:39], v[38:39], -0.5, v[18:19]
	v_add_f64 v[56:57], v[66:67], -v[76:77]
	v_fma_f64 v[26:27], v[26:27], -0.5, v[20:21]
	v_add_f64 v[24:25], v[24:25], v[72:73]
	v_fma_f64 v[20:21], v[28:29], s[2:3], v[26:27]
	v_fma_f64 v[28:29], v[28:29], s[4:5], v[26:27]
	v_add_f64 v[26:27], v[22:23], v[46:47]
	v_fma_f64 v[22:23], v[32:33], s[4:5], v[30:31]
	v_fma_f64 v[30:31], v[32:33], s[2:3], v[30:31]
	;; [unrolled: 3-line block ×3, first 2 shown]
	v_add_f64 v[34:35], v[18:19], v[42:43]
	v_add_f64 v[42:43], v[70:71], -v[44:45]
	v_add_f64 v[46:47], v[74:75], -v[78:79]
	v_add_f64 v[26:27], v[26:27], v[68:69]
	v_add_f64 v[32:33], v[32:33], v[44:45]
	;; [unrolled: 1-line block ×4, first 2 shown]
	v_fma_f64 v[18:19], v[42:43], s[4:5], v[38:39]
	v_fma_f64 v[38:39], v[42:43], s[2:3], v[38:39]
	v_add_f64 v[42:43], v[12:13], v[66:67]
	v_fma_f64 v[44:45], v[44:45], -0.5, v[12:13]
	v_add_f64 v[42:43], v[42:43], v[76:77]
	v_fma_f64 v[12:13], v[46:47], s[2:3], v[44:45]
	v_fma_f64 v[64:65], v[46:47], s[4:5], v[44:45]
	v_add_f64 v[46:47], v[74:75], v[78:79]
	v_add_f64 v[44:45], v[14:15], v[74:75]
	v_fma_f64 v[46:47], v[46:47], -0.5, v[14:15]
	v_add_f64 v[44:45], v[44:45], v[78:79]
	v_fma_f64 v[14:15], v[56:57], s[4:5], v[46:47]
	v_fma_f64 v[66:67], v[56:57], s[2:3], v[46:47]
	ds_write_b128 v59, v[24:27]
	ds_write_b128 v59, v[20:23] offset:4800
	ds_write_b128 v59, v[28:31] offset:9600
	ds_write_b128 v63, v[32:35]
	ds_write_b128 v63, v[16:19] offset:4800
	ds_write_b128 v63, v[36:39] offset:9600
	;; [unrolled: 3-line block ×3, first 2 shown]
	s_and_saveexec_b64 s[6:7], vcc
	s_cbranch_execz .LBB0_21
; %bb.20:
	v_subrev_u32_e32 v12, 30, v48
	v_cndmask_b32_e32 v12, v12, v54, vcc
	v_lshlrev_b32_e32 v40, 1, v12
	v_lshlrev_b64 v[12:13], 4, v[40:41]
	v_mov_b32_e32 v14, s9
	v_add_co_u32_e32 v12, vcc, s8, v12
	v_addc_co_u32_e32 v13, vcc, v14, v13, vcc
	v_add_co_u32_e32 v20, vcc, 0x1220, v12
	v_addc_co_u32_e32 v21, vcc, 0, v13, vcc
	;; [unrolled: 2-line block ×3, first 2 shown]
	global_load_dwordx4 v[12:15], v[22:23], off offset:544
	global_load_dwordx4 v[16:19], v[20:21], off offset:16
	s_waitcnt vmcnt(1)
	v_mul_f64 v[20:21], v[0:1], v[14:15]
	s_waitcnt vmcnt(0)
	v_mul_f64 v[22:23], v[8:9], v[18:19]
	v_mul_f64 v[14:15], v[2:3], v[14:15]
	;; [unrolled: 1-line block ×3, first 2 shown]
	v_fma_f64 v[2:3], v[2:3], v[12:13], -v[20:21]
	v_fma_f64 v[10:11], v[10:11], v[16:17], -v[22:23]
	v_fma_f64 v[0:1], v[0:1], v[12:13], v[14:15]
	v_fma_f64 v[8:9], v[8:9], v[16:17], v[18:19]
	v_add_f64 v[18:19], v[6:7], v[2:3]
	v_add_f64 v[12:13], v[2:3], v[10:11]
	v_add_f64 v[20:21], v[2:3], -v[10:11]
	v_add_f64 v[14:15], v[0:1], v[8:9]
	v_add_f64 v[16:17], v[0:1], -v[8:9]
	v_add_f64 v[0:1], v[4:5], v[0:1]
	v_add_f64 v[2:3], v[18:19], v[10:11]
	v_fma_f64 v[12:13], v[12:13], -0.5, v[6:7]
	v_fma_f64 v[4:5], v[14:15], -0.5, v[4:5]
	v_add_f64 v[0:1], v[0:1], v[8:9]
	v_fma_f64 v[10:11], v[16:17], s[4:5], v[12:13]
	v_fma_f64 v[6:7], v[16:17], s[2:3], v[12:13]
	;; [unrolled: 1-line block ×4, first 2 shown]
	ds_write_b128 v59, v[0:3] offset:4320
	ds_write_b128 v59, v[8:11] offset:9120
	;; [unrolled: 1-line block ×3, first 2 shown]
.LBB0_21:
	s_or_b64 exec, exec, s[6:7]
	s_waitcnt lgkmcnt(0)
	s_barrier
	ds_read_b128 v[4:7], v58
	s_add_u32 s4, s8, 0x37a0
	s_addc_u32 s5, s9, 0
	v_sub_u32_e32 v12, v49, v53
	v_cmp_ne_u32_e32 vcc, 0, v48
                                        ; implicit-def: $vgpr0_vgpr1
                                        ; implicit-def: $vgpr8_vgpr9
                                        ; implicit-def: $vgpr10_vgpr11
	s_and_saveexec_b64 s[2:3], vcc
	s_xor_b64 s[2:3], exec, s[2:3]
	s_cbranch_execz .LBB0_23
; %bb.22:
	v_mov_b32_e32 v49, 0
	v_lshlrev_b64 v[0:1], 4, v[48:49]
	v_mov_b32_e32 v2, s5
	v_add_co_u32_e32 v0, vcc, s4, v0
	v_addc_co_u32_e32 v1, vcc, v2, v1, vcc
	global_load_dwordx4 v[13:16], v[0:1], off
	ds_read_b128 v[0:3], v12 offset:14400
                                        ; implicit-def: $vgpr49
	s_waitcnt lgkmcnt(0)
	v_add_f64 v[8:9], v[4:5], -v[0:1]
	v_add_f64 v[10:11], v[6:7], v[2:3]
	v_add_f64 v[2:3], v[6:7], -v[2:3]
	v_add_f64 v[0:1], v[4:5], v[0:1]
	v_mul_f64 v[6:7], v[8:9], 0.5
	v_mul_f64 v[4:5], v[10:11], 0.5
	;; [unrolled: 1-line block ×3, first 2 shown]
	s_waitcnt vmcnt(0)
	v_mul_f64 v[8:9], v[6:7], v[15:16]
	v_fma_f64 v[10:11], v[4:5], v[15:16], v[2:3]
	v_fma_f64 v[2:3], v[4:5], v[15:16], -v[2:3]
	v_fma_f64 v[17:18], v[0:1], 0.5, v[8:9]
	v_fma_f64 v[0:1], v[0:1], 0.5, -v[8:9]
	v_fma_f64 v[10:11], -v[13:14], v[6:7], v[10:11]
	v_fma_f64 v[2:3], -v[13:14], v[6:7], v[2:3]
	v_fma_f64 v[8:9], v[4:5], v[13:14], v[17:18]
	v_fma_f64 v[0:1], -v[4:5], v[13:14], v[0:1]
                                        ; implicit-def: $vgpr4_vgpr5
.LBB0_23:
	s_andn2_saveexec_b64 s[2:3], s[2:3]
	s_cbranch_execz .LBB0_25
; %bb.24:
	s_waitcnt lgkmcnt(0)
	v_add_f64 v[8:9], v[4:5], v[6:7]
	ds_read_b64 v[2:3], v49 offset:7208
	v_add_f64 v[0:1], v[4:5], -v[6:7]
	v_mov_b32_e32 v10, 0
	v_mov_b32_e32 v11, 0
	s_waitcnt lgkmcnt(0)
	v_xor_b32_e32 v3, 0x80000000, v3
	ds_write_b64 v49, v[2:3] offset:7208
	v_mov_b32_e32 v2, v10
	v_mov_b32_e32 v3, v11
.LBB0_25:
	s_or_b64 exec, exec, s[2:3]
	v_mov_b32_e32 v53, 0
	s_waitcnt lgkmcnt(0)
	v_lshlrev_b64 v[4:5], 4, v[52:53]
	v_mov_b32_e32 v6, s5
	v_add_co_u32_e32 v4, vcc, s4, v4
	v_addc_co_u32_e32 v5, vcc, v6, v5, vcc
	global_load_dwordx4 v[4:7], v[4:5], off
	v_mov_b32_e32 v56, v53
	v_lshlrev_b64 v[13:14], 4, v[55:56]
	v_mov_b32_e32 v15, s5
	v_add_co_u32_e32 v13, vcc, s4, v13
	v_addc_co_u32_e32 v14, vcc, v15, v14, vcc
	global_load_dwordx4 v[13:16], v[13:14], off
	ds_write2_b64 v58, v[8:9], v[10:11] offset1:1
	ds_write_b128 v12, v[0:3] offset:14400
	ds_read_b128 v[0:3], v63
	ds_read_b128 v[8:11], v12 offset:12960
	v_mov_b32_e32 v55, v53
	v_mov_b32_e32 v25, s5
	v_add_u32_e32 v52, 0x168, v48
	s_movk_i32 s2, 0x1000
	s_waitcnt lgkmcnt(0)
	v_add_f64 v[17:18], v[0:1], -v[8:9]
	v_add_f64 v[19:20], v[2:3], v[10:11]
	v_add_f64 v[2:3], v[2:3], -v[10:11]
	v_add_f64 v[0:1], v[0:1], v[8:9]
	v_mul_f64 v[10:11], v[17:18], 0.5
	v_mul_f64 v[17:18], v[19:20], 0.5
	;; [unrolled: 1-line block ×3, first 2 shown]
	v_lshlrev_b64 v[19:20], 4, v[54:55]
	s_waitcnt vmcnt(1)
	v_mul_f64 v[8:9], v[10:11], v[6:7]
	v_fma_f64 v[21:22], v[17:18], v[6:7], v[2:3]
	v_fma_f64 v[6:7], v[17:18], v[6:7], -v[2:3]
	v_fma_f64 v[23:24], v[0:1], 0.5, v[8:9]
	v_fma_f64 v[8:9], v[0:1], 0.5, -v[8:9]
	v_add_co_u32_e32 v0, vcc, s4, v19
	v_addc_co_u32_e32 v1, vcc, v25, v20, vcc
	global_load_dwordx4 v[0:3], v[0:1], off
	v_fma_f64 v[19:20], -v[4:5], v[10:11], v[21:22]
	v_fma_f64 v[6:7], -v[4:5], v[10:11], v[6:7]
	v_fma_f64 v[10:11], v[17:18], v[4:5], v[23:24]
	v_fma_f64 v[4:5], -v[17:18], v[4:5], v[8:9]
	ds_write2_b64 v63, v[10:11], v[19:20] offset1:1
	ds_write_b128 v12, v[4:7] offset:12960
	ds_read_b128 v[4:7], v62
	ds_read_b128 v[8:11], v12 offset:11520
	s_waitcnt lgkmcnt(0)
	v_add_f64 v[17:18], v[4:5], -v[8:9]
	v_add_f64 v[19:20], v[6:7], v[10:11]
	v_add_f64 v[6:7], v[6:7], -v[10:11]
	v_add_f64 v[4:5], v[4:5], v[8:9]
	v_mul_f64 v[10:11], v[17:18], 0.5
	v_mul_f64 v[17:18], v[19:20], 0.5
	;; [unrolled: 1-line block ×3, first 2 shown]
	v_lshlrev_b64 v[19:20], 4, v[52:53]
	s_waitcnt vmcnt(1)
	v_mul_f64 v[8:9], v[10:11], v[15:16]
	v_fma_f64 v[21:22], v[17:18], v[15:16], v[6:7]
	v_fma_f64 v[15:16], v[17:18], v[15:16], -v[6:7]
	v_fma_f64 v[23:24], v[4:5], 0.5, v[8:9]
	v_fma_f64 v[8:9], v[4:5], 0.5, -v[8:9]
	v_add_co_u32_e32 v4, vcc, s4, v19
	v_addc_co_u32_e32 v5, vcc, v25, v20, vcc
	global_load_dwordx4 v[4:7], v[4:5], off
	v_fma_f64 v[19:20], -v[13:14], v[10:11], v[21:22]
	v_fma_f64 v[10:11], -v[13:14], v[10:11], v[15:16]
	v_fma_f64 v[15:16], v[17:18], v[13:14], v[23:24]
	v_fma_f64 v[8:9], -v[17:18], v[13:14], v[8:9]
	ds_write2_b64 v62, v[15:16], v[19:20] offset1:1
	ds_write_b128 v12, v[8:11] offset:11520
	ds_read_b128 v[8:11], v61
	ds_read_b128 v[13:16], v12 offset:10080
	s_waitcnt lgkmcnt(0)
	v_add_f64 v[17:18], v[8:9], -v[13:14]
	v_add_f64 v[19:20], v[10:11], v[15:16]
	v_add_f64 v[10:11], v[10:11], -v[15:16]
	v_add_f64 v[8:9], v[8:9], v[13:14]
	v_mul_f64 v[15:16], v[17:18], 0.5
	v_mul_f64 v[17:18], v[19:20], 0.5
	;; [unrolled: 1-line block ×3, first 2 shown]
	s_waitcnt vmcnt(1)
	v_mul_f64 v[13:14], v[15:16], v[2:3]
	v_fma_f64 v[19:20], v[17:18], v[2:3], v[10:11]
	v_fma_f64 v[2:3], v[17:18], v[2:3], -v[10:11]
	v_fma_f64 v[10:11], v[8:9], 0.5, v[13:14]
	v_fma_f64 v[8:9], v[8:9], 0.5, -v[13:14]
	v_fma_f64 v[13:14], -v[0:1], v[15:16], v[19:20]
	v_fma_f64 v[2:3], -v[0:1], v[15:16], v[2:3]
	v_fma_f64 v[10:11], v[17:18], v[0:1], v[10:11]
	v_fma_f64 v[0:1], -v[17:18], v[0:1], v[8:9]
	ds_write2_b64 v61, v[10:11], v[13:14] offset1:1
	ds_write_b128 v12, v[0:3] offset:10080
	ds_read_b128 v[0:3], v58 offset:5760
	ds_read_b128 v[8:11], v12 offset:8640
	s_waitcnt lgkmcnt(0)
	v_add_f64 v[13:14], v[0:1], -v[8:9]
	v_add_f64 v[15:16], v[2:3], v[10:11]
	v_add_f64 v[2:3], v[2:3], -v[10:11]
	v_add_f64 v[0:1], v[0:1], v[8:9]
	v_mul_f64 v[10:11], v[13:14], 0.5
	v_mul_f64 v[13:14], v[15:16], 0.5
	v_mul_f64 v[2:3], v[2:3], 0.5
	s_waitcnt vmcnt(0)
	v_mul_f64 v[8:9], v[10:11], v[6:7]
	v_fma_f64 v[15:16], v[13:14], v[6:7], v[2:3]
	v_fma_f64 v[2:3], v[13:14], v[6:7], -v[2:3]
	v_fma_f64 v[6:7], v[0:1], 0.5, v[8:9]
	v_fma_f64 v[0:1], v[0:1], 0.5, -v[8:9]
	v_fma_f64 v[8:9], -v[4:5], v[10:11], v[15:16]
	v_fma_f64 v[2:3], -v[4:5], v[10:11], v[2:3]
	v_fma_f64 v[6:7], v[13:14], v[4:5], v[6:7]
	v_fma_f64 v[0:1], -v[13:14], v[4:5], v[0:1]
	v_add_u32_e32 v4, 0x1000, v58
	ds_write2_b64 v4, v[6:7], v[8:9] offset0:208 offset1:209
	ds_write_b128 v12, v[0:3] offset:8640
	s_waitcnt lgkmcnt(0)
	s_barrier
	s_and_saveexec_b64 s[4:5], s[0:1]
	s_cbranch_execz .LBB0_28
; %bb.26:
	v_mov_b32_e32 v49, v53
	ds_read_b128 v[2:5], v58
	ds_read_b128 v[6:9], v58 offset:1440
	ds_read_b128 v[10:13], v58 offset:2880
	v_mov_b32_e32 v0, s13
	v_add_co_u32_e32 v1, vcc, s12, v50
	v_lshlrev_b64 v[14:15], 4, v[48:49]
	v_addc_co_u32_e32 v0, vcc, v0, v51, vcc
	v_add_co_u32_e32 v14, vcc, v1, v14
	v_addc_co_u32_e32 v15, vcc, v0, v15, vcc
	s_waitcnt lgkmcnt(2)
	global_store_dwordx4 v[14:15], v[2:5], off
	s_waitcnt lgkmcnt(1)
	global_store_dwordx4 v[14:15], v[6:9], off offset:1440
	s_waitcnt lgkmcnt(0)
	global_store_dwordx4 v[14:15], v[10:13], off offset:2880
	ds_read_b128 v[2:5], v58 offset:4320
	ds_read_b128 v[6:9], v58 offset:5760
	;; [unrolled: 1-line block ×3, first 2 shown]
	v_add_co_u32_e32 v16, vcc, s2, v14
	v_addc_co_u32_e32 v17, vcc, 0, v15, vcc
	s_waitcnt lgkmcnt(2)
	global_store_dwordx4 v[16:17], v[2:5], off offset:224
	s_waitcnt lgkmcnt(1)
	global_store_dwordx4 v[16:17], v[6:9], off offset:1664
	;; [unrolled: 2-line block ×3, first 2 shown]
	ds_read_b128 v[2:5], v58 offset:8640
	ds_read_b128 v[6:9], v58 offset:10080
	;; [unrolled: 1-line block ×3, first 2 shown]
	s_movk_i32 s0, 0x2000
	v_add_co_u32_e32 v16, vcc, s0, v14
	v_addc_co_u32_e32 v17, vcc, 0, v15, vcc
	s_waitcnt lgkmcnt(2)
	global_store_dwordx4 v[16:17], v[2:5], off offset:448
	s_waitcnt lgkmcnt(1)
	global_store_dwordx4 v[16:17], v[6:9], off offset:1888
	ds_read_b128 v[2:5], v58 offset:12960
	v_add_co_u32_e32 v6, vcc, 0x3000, v14
	v_addc_co_u32_e32 v7, vcc, 0, v15, vcc
	s_movk_i32 s0, 0x59
	v_cmp_eq_u32_e32 vcc, s0, v48
	s_waitcnt lgkmcnt(1)
	global_store_dwordx4 v[16:17], v[10:13], off offset:3328
	s_waitcnt lgkmcnt(0)
	global_store_dwordx4 v[6:7], v[2:5], off offset:672
	s_and_b64 exec, exec, vcc
	s_cbranch_execz .LBB0_28
; %bb.27:
	ds_read_b128 v[2:5], v58 offset:12976
	v_add_co_u32_e32 v6, vcc, 0x3000, v1
	v_addc_co_u32_e32 v7, vcc, 0, v0, vcc
	s_waitcnt lgkmcnt(0)
	global_store_dwordx4 v[6:7], v[2:5], off offset:2112
.LBB0_28:
	s_endpgm
	.section	.rodata,"a",@progbits
	.p2align	6, 0x0
	.amdhsa_kernel fft_rtc_back_len900_factors_10_10_3_3_wgs_180_tpt_90_halfLds_dp_ip_CI_unitstride_sbrr_R2C_dirReg
		.amdhsa_group_segment_fixed_size 0
		.amdhsa_private_segment_fixed_size 0
		.amdhsa_kernarg_size 88
		.amdhsa_user_sgpr_count 6
		.amdhsa_user_sgpr_private_segment_buffer 1
		.amdhsa_user_sgpr_dispatch_ptr 0
		.amdhsa_user_sgpr_queue_ptr 0
		.amdhsa_user_sgpr_kernarg_segment_ptr 1
		.amdhsa_user_sgpr_dispatch_id 0
		.amdhsa_user_sgpr_flat_scratch_init 0
		.amdhsa_user_sgpr_private_segment_size 0
		.amdhsa_uses_dynamic_stack 0
		.amdhsa_system_sgpr_private_segment_wavefront_offset 0
		.amdhsa_system_sgpr_workgroup_id_x 1
		.amdhsa_system_sgpr_workgroup_id_y 0
		.amdhsa_system_sgpr_workgroup_id_z 0
		.amdhsa_system_sgpr_workgroup_info 0
		.amdhsa_system_vgpr_workitem_id 0
		.amdhsa_next_free_vgpr 93
		.amdhsa_next_free_sgpr 23
		.amdhsa_reserve_vcc 1
		.amdhsa_reserve_flat_scratch 0
		.amdhsa_float_round_mode_32 0
		.amdhsa_float_round_mode_16_64 0
		.amdhsa_float_denorm_mode_32 3
		.amdhsa_float_denorm_mode_16_64 3
		.amdhsa_dx10_clamp 1
		.amdhsa_ieee_mode 1
		.amdhsa_fp16_overflow 0
		.amdhsa_exception_fp_ieee_invalid_op 0
		.amdhsa_exception_fp_denorm_src 0
		.amdhsa_exception_fp_ieee_div_zero 0
		.amdhsa_exception_fp_ieee_overflow 0
		.amdhsa_exception_fp_ieee_underflow 0
		.amdhsa_exception_fp_ieee_inexact 0
		.amdhsa_exception_int_div_zero 0
	.end_amdhsa_kernel
	.text
.Lfunc_end0:
	.size	fft_rtc_back_len900_factors_10_10_3_3_wgs_180_tpt_90_halfLds_dp_ip_CI_unitstride_sbrr_R2C_dirReg, .Lfunc_end0-fft_rtc_back_len900_factors_10_10_3_3_wgs_180_tpt_90_halfLds_dp_ip_CI_unitstride_sbrr_R2C_dirReg
                                        ; -- End function
	.section	.AMDGPU.csdata,"",@progbits
; Kernel info:
; codeLenInByte = 8872
; NumSgprs: 27
; NumVgprs: 93
; ScratchSize: 0
; MemoryBound: 0
; FloatMode: 240
; IeeeMode: 1
; LDSByteSize: 0 bytes/workgroup (compile time only)
; SGPRBlocks: 3
; VGPRBlocks: 23
; NumSGPRsForWavesPerEU: 27
; NumVGPRsForWavesPerEU: 93
; Occupancy: 2
; WaveLimiterHint : 1
; COMPUTE_PGM_RSRC2:SCRATCH_EN: 0
; COMPUTE_PGM_RSRC2:USER_SGPR: 6
; COMPUTE_PGM_RSRC2:TRAP_HANDLER: 0
; COMPUTE_PGM_RSRC2:TGID_X_EN: 1
; COMPUTE_PGM_RSRC2:TGID_Y_EN: 0
; COMPUTE_PGM_RSRC2:TGID_Z_EN: 0
; COMPUTE_PGM_RSRC2:TIDIG_COMP_CNT: 0
	.type	__hip_cuid_891f3ad446388697,@object ; @__hip_cuid_891f3ad446388697
	.section	.bss,"aw",@nobits
	.globl	__hip_cuid_891f3ad446388697
__hip_cuid_891f3ad446388697:
	.byte	0                               ; 0x0
	.size	__hip_cuid_891f3ad446388697, 1

	.ident	"AMD clang version 19.0.0git (https://github.com/RadeonOpenCompute/llvm-project roc-6.4.0 25133 c7fe45cf4b819c5991fe208aaa96edf142730f1d)"
	.section	".note.GNU-stack","",@progbits
	.addrsig
	.addrsig_sym __hip_cuid_891f3ad446388697
	.amdgpu_metadata
---
amdhsa.kernels:
  - .args:
      - .actual_access:  read_only
        .address_space:  global
        .offset:         0
        .size:           8
        .value_kind:     global_buffer
      - .offset:         8
        .size:           8
        .value_kind:     by_value
      - .actual_access:  read_only
        .address_space:  global
        .offset:         16
        .size:           8
        .value_kind:     global_buffer
      - .actual_access:  read_only
        .address_space:  global
        .offset:         24
        .size:           8
        .value_kind:     global_buffer
      - .offset:         32
        .size:           8
        .value_kind:     by_value
      - .actual_access:  read_only
        .address_space:  global
        .offset:         40
        .size:           8
        .value_kind:     global_buffer
      - .actual_access:  read_only
        .address_space:  global
        .offset:         48
        .size:           8
        .value_kind:     global_buffer
      - .offset:         56
        .size:           4
        .value_kind:     by_value
      - .actual_access:  read_only
        .address_space:  global
        .offset:         64
        .size:           8
        .value_kind:     global_buffer
      - .actual_access:  read_only
        .address_space:  global
        .offset:         72
        .size:           8
        .value_kind:     global_buffer
      - .address_space:  global
        .offset:         80
        .size:           8
        .value_kind:     global_buffer
    .group_segment_fixed_size: 0
    .kernarg_segment_align: 8
    .kernarg_segment_size: 88
    .language:       OpenCL C
    .language_version:
      - 2
      - 0
    .max_flat_workgroup_size: 180
    .name:           fft_rtc_back_len900_factors_10_10_3_3_wgs_180_tpt_90_halfLds_dp_ip_CI_unitstride_sbrr_R2C_dirReg
    .private_segment_fixed_size: 0
    .sgpr_count:     27
    .sgpr_spill_count: 0
    .symbol:         fft_rtc_back_len900_factors_10_10_3_3_wgs_180_tpt_90_halfLds_dp_ip_CI_unitstride_sbrr_R2C_dirReg.kd
    .uniform_work_group_size: 1
    .uses_dynamic_stack: false
    .vgpr_count:     93
    .vgpr_spill_count: 0
    .wavefront_size: 64
amdhsa.target:   amdgcn-amd-amdhsa--gfx906
amdhsa.version:
  - 1
  - 2
...

	.end_amdgpu_metadata
